;; amdgpu-corpus repo=ROCm/rocFFT kind=compiled arch=gfx950 opt=O3
	.text
	.amdgcn_target "amdgcn-amd-amdhsa--gfx950"
	.amdhsa_code_object_version 6
	.protected	fft_rtc_back_len1080_factors_6_10_6_3_wgs_216_tpt_108_halfLds_sp_op_CI_CI_unitstride_sbrr_C2R_dirReg ; -- Begin function fft_rtc_back_len1080_factors_6_10_6_3_wgs_216_tpt_108_halfLds_sp_op_CI_CI_unitstride_sbrr_C2R_dirReg
	.globl	fft_rtc_back_len1080_factors_6_10_6_3_wgs_216_tpt_108_halfLds_sp_op_CI_CI_unitstride_sbrr_C2R_dirReg
	.p2align	8
	.type	fft_rtc_back_len1080_factors_6_10_6_3_wgs_216_tpt_108_halfLds_sp_op_CI_CI_unitstride_sbrr_C2R_dirReg,@function
fft_rtc_back_len1080_factors_6_10_6_3_wgs_216_tpt_108_halfLds_sp_op_CI_CI_unitstride_sbrr_C2R_dirReg: ; @fft_rtc_back_len1080_factors_6_10_6_3_wgs_216_tpt_108_halfLds_sp_op_CI_CI_unitstride_sbrr_C2R_dirReg
; %bb.0:
	s_load_dwordx4 s[4:7], s[0:1], 0x58
	s_load_dwordx4 s[8:11], s[0:1], 0x0
	;; [unrolled: 1-line block ×3, first 2 shown]
	v_mul_u32_u24_e32 v1, 0x25f, v0
	v_lshrrev_b32_e32 v1, 16, v1
	v_lshl_add_u32 v6, s2, 1, v1
	v_mov_b32_e32 v4, 0
	s_waitcnt lgkmcnt(0)
	v_cmp_lt_u64_e64 s[2:3], s[10:11], 2
	v_mov_b32_e32 v7, v4
	s_and_b64 vcc, exec, s[2:3]
	v_mov_b64_e32 v[2:3], 0
	s_cbranch_vccnz .LBB0_8
; %bb.1:
	s_load_dwordx2 s[2:3], s[0:1], 0x10
	s_add_u32 s16, s14, 8
	s_addc_u32 s17, s15, 0
	s_add_u32 s18, s12, 8
	s_addc_u32 s19, s13, 0
	s_waitcnt lgkmcnt(0)
	s_add_u32 s20, s2, 8
	v_mov_b64_e32 v[2:3], 0
	s_addc_u32 s21, s3, 0
	s_mov_b64 s[22:23], 1
	v_mov_b64_e32 v[24:25], v[2:3]
.LBB0_2:                                ; =>This Inner Loop Header: Depth=1
	s_load_dwordx2 s[24:25], s[20:21], 0x0
                                        ; implicit-def: $vgpr26_vgpr27
	s_waitcnt lgkmcnt(0)
	v_or_b32_e32 v5, s25, v7
	v_cmp_ne_u64_e32 vcc, 0, v[4:5]
	s_and_saveexec_b64 s[2:3], vcc
	s_xor_b64 s[26:27], exec, s[2:3]
	s_cbranch_execz .LBB0_4
; %bb.3:                                ;   in Loop: Header=BB0_2 Depth=1
	v_cvt_f32_u32_e32 v5, s24
	v_cvt_f32_u32_e32 v8, s25
	s_sub_u32 s2, 0, s24
	s_subb_u32 s3, 0, s25
	v_fmac_f32_e32 v5, 0x4f800000, v8
	v_rcp_f32_e32 v5, v5
	s_nop 0
	v_mul_f32_e32 v5, 0x5f7ffffc, v5
	v_mul_f32_e32 v8, 0x2f800000, v5
	v_trunc_f32_e32 v8, v8
	v_fmac_f32_e32 v5, 0xcf800000, v8
	v_cvt_u32_f32_e32 v12, v8
	v_cvt_u32_f32_e32 v5, v5
	v_mul_lo_u32 v8, s2, v12
	v_mul_hi_u32 v10, s2, v5
	v_mul_lo_u32 v9, s3, v5
	v_add_u32_e32 v10, v10, v8
	v_mul_lo_u32 v13, s2, v5
	v_add_u32_e32 v14, v10, v9
	v_mul_hi_u32 v8, v5, v13
	v_mul_hi_u32 v11, v5, v14
	v_mul_lo_u32 v10, v5, v14
	v_mov_b32_e32 v9, v4
	v_lshl_add_u64 v[8:9], v[8:9], 0, v[10:11]
	v_mul_hi_u32 v11, v12, v13
	v_mul_lo_u32 v13, v12, v13
	v_add_co_u32_e32 v8, vcc, v8, v13
	v_mul_hi_u32 v10, v12, v14
	s_nop 0
	v_addc_co_u32_e32 v8, vcc, v9, v11, vcc
	v_mov_b32_e32 v9, v4
	s_nop 0
	v_addc_co_u32_e32 v11, vcc, 0, v10, vcc
	v_mul_lo_u32 v10, v12, v14
	v_lshl_add_u64 v[8:9], v[8:9], 0, v[10:11]
	v_add_co_u32_e32 v5, vcc, v5, v8
	v_mul_lo_u32 v10, s2, v5
	s_nop 0
	v_addc_co_u32_e32 v12, vcc, v12, v9, vcc
	v_mul_lo_u32 v8, s2, v12
	v_mul_hi_u32 v9, s2, v5
	v_add_u32_e32 v8, v9, v8
	v_mul_lo_u32 v9, s3, v5
	v_add_u32_e32 v13, v8, v9
	v_mul_hi_u32 v15, v12, v10
	v_mul_lo_u32 v16, v12, v10
	v_mul_hi_u32 v9, v5, v13
	v_mul_lo_u32 v8, v5, v13
	v_mul_hi_u32 v10, v5, v10
	v_mov_b32_e32 v11, v4
	v_lshl_add_u64 v[8:9], v[10:11], 0, v[8:9]
	v_add_co_u32_e32 v8, vcc, v8, v16
	v_mul_hi_u32 v14, v12, v13
	s_nop 0
	v_addc_co_u32_e32 v8, vcc, v9, v15, vcc
	v_mul_lo_u32 v10, v12, v13
	s_nop 0
	v_addc_co_u32_e32 v11, vcc, 0, v14, vcc
	v_mov_b32_e32 v9, v4
	v_lshl_add_u64 v[8:9], v[8:9], 0, v[10:11]
	v_add_co_u32_e32 v5, vcc, v5, v8
	v_mul_hi_u32 v10, v6, v5
	s_nop 0
	v_addc_co_u32_e32 v12, vcc, v12, v9, vcc
	v_mad_u64_u32 v[8:9], s[2:3], v6, v12, 0
	v_mov_b32_e32 v11, v4
	v_lshl_add_u64 v[8:9], v[10:11], 0, v[8:9]
	v_mad_u64_u32 v[10:11], s[2:3], v7, v12, 0
	v_mad_u64_u32 v[12:13], s[2:3], v7, v5, 0
	v_add_co_u32_e32 v5, vcc, v8, v12
	s_nop 1
	v_addc_co_u32_e32 v8, vcc, v9, v13, vcc
	v_mov_b32_e32 v9, v4
	s_nop 0
	v_addc_co_u32_e32 v11, vcc, 0, v11, vcc
	v_lshl_add_u64 v[8:9], v[8:9], 0, v[10:11]
	v_mul_lo_u32 v5, s25, v8
	v_mul_lo_u32 v12, s24, v9
	v_mad_u64_u32 v[10:11], s[2:3], s24, v8, 0
	v_add3_u32 v5, v11, v12, v5
	v_sub_u32_e32 v11, v7, v5
	v_mov_b32_e32 v12, s25
	v_sub_co_u32_e32 v14, vcc, v6, v10
	s_nop 1
	v_subb_co_u32_e64 v10, s[2:3], v11, v12, vcc
	v_subrev_co_u32_e64 v11, s[2:3], s24, v14
	v_subb_co_u32_e32 v5, vcc, v7, v5, vcc
	s_nop 0
	v_subbrev_co_u32_e64 v10, s[2:3], 0, v10, s[2:3]
	v_cmp_le_u32_e64 s[2:3], s25, v10
	v_cmp_le_u32_e32 vcc, s25, v5
	s_nop 0
	v_cndmask_b32_e64 v12, 0, -1, s[2:3]
	v_cmp_le_u32_e64 s[2:3], s24, v11
	s_nop 1
	v_cndmask_b32_e64 v11, 0, -1, s[2:3]
	v_cmp_eq_u32_e64 s[2:3], s25, v10
	s_nop 1
	v_cndmask_b32_e64 v15, v12, v11, s[2:3]
	v_lshl_add_u64 v[10:11], v[8:9], 0, 2
	v_lshl_add_u64 v[12:13], v[8:9], 0, 1
	v_cmp_ne_u32_e64 s[2:3], 0, v15
	s_nop 1
	v_cndmask_b32_e64 v11, v13, v11, s[2:3]
	v_cndmask_b32_e64 v13, 0, -1, vcc
	v_cmp_le_u32_e32 vcc, s24, v14
	s_nop 1
	v_cndmask_b32_e64 v14, 0, -1, vcc
	v_cmp_eq_u32_e32 vcc, s25, v5
	s_nop 1
	v_cndmask_b32_e32 v5, v13, v14, vcc
	v_cmp_ne_u32_e32 vcc, 0, v5
	v_cndmask_b32_e64 v5, v12, v10, s[2:3]
	s_nop 0
	v_cndmask_b32_e32 v27, v9, v11, vcc
	v_cndmask_b32_e32 v26, v8, v5, vcc
.LBB0_4:                                ;   in Loop: Header=BB0_2 Depth=1
	s_andn2_saveexec_b64 s[2:3], s[26:27]
	s_cbranch_execz .LBB0_6
; %bb.5:                                ;   in Loop: Header=BB0_2 Depth=1
	v_cvt_f32_u32_e32 v5, s24
	s_sub_i32 s26, 0, s24
	v_mov_b32_e32 v27, v4
	v_rcp_iflag_f32_e32 v5, v5
	s_nop 0
	v_mul_f32_e32 v5, 0x4f7ffffe, v5
	v_cvt_u32_f32_e32 v5, v5
	v_mul_lo_u32 v8, s26, v5
	v_mul_hi_u32 v8, v5, v8
	v_add_u32_e32 v5, v5, v8
	v_mul_hi_u32 v5, v6, v5
	v_mul_lo_u32 v8, v5, s24
	v_sub_u32_e32 v8, v6, v8
	v_add_u32_e32 v9, 1, v5
	v_subrev_u32_e32 v10, s24, v8
	v_cmp_le_u32_e32 vcc, s24, v8
	s_nop 1
	v_cndmask_b32_e32 v8, v8, v10, vcc
	v_cndmask_b32_e32 v5, v5, v9, vcc
	v_add_u32_e32 v9, 1, v5
	v_cmp_le_u32_e32 vcc, s24, v8
	s_nop 1
	v_cndmask_b32_e32 v26, v5, v9, vcc
.LBB0_6:                                ;   in Loop: Header=BB0_2 Depth=1
	s_or_b64 exec, exec, s[2:3]
	v_mad_u64_u32 v[8:9], s[2:3], v26, s24, 0
	s_load_dwordx2 s[2:3], s[18:19], 0x0
	v_mul_lo_u32 v5, v27, s24
	v_mul_lo_u32 v10, v26, s25
	s_load_dwordx2 s[24:25], s[16:17], 0x0
	s_add_u32 s22, s22, 1
	v_add3_u32 v5, v9, v10, v5
	v_sub_co_u32_e32 v6, vcc, v6, v8
	s_addc_u32 s23, s23, 0
	s_nop 0
	v_subb_co_u32_e32 v5, vcc, v7, v5, vcc
	s_add_u32 s16, s16, 8
	s_waitcnt lgkmcnt(0)
	v_mul_lo_u32 v7, s2, v5
	v_mul_lo_u32 v8, s3, v6
	v_mad_u64_u32 v[2:3], s[2:3], s2, v6, v[2:3]
	s_addc_u32 s17, s17, 0
	v_add3_u32 v3, v8, v3, v7
	v_mul_lo_u32 v5, s24, v5
	v_mul_lo_u32 v7, s25, v6
	v_mad_u64_u32 v[24:25], s[2:3], s24, v6, v[24:25]
	s_add_u32 s18, s18, 8
	v_add3_u32 v25, v7, v25, v5
	s_addc_u32 s19, s19, 0
	v_mov_b64_e32 v[6:7], s[10:11]
	s_add_u32 s20, s20, 8
	v_cmp_ge_u64_e32 vcc, s[22:23], v[6:7]
	s_addc_u32 s21, s21, 0
	s_cbranch_vccnz .LBB0_9
; %bb.7:                                ;   in Loop: Header=BB0_2 Depth=1
	v_mov_b64_e32 v[6:7], v[26:27]
	s_branch .LBB0_2
.LBB0_8:
	v_mov_b64_e32 v[24:25], v[2:3]
	v_mov_b64_e32 v[26:27], v[6:7]
.LBB0_9:
	s_load_dwordx2 s[2:3], s[0:1], 0x28
	s_lshl_b64 s[16:17], s[10:11], 3
	s_add_u32 s10, s14, s16
	v_and_b32_e32 v1, 1, v1
	s_addc_u32 s11, s15, s17
	v_cmp_eq_u32_e32 vcc, 1, v1
	v_mov_b32_e32 v1, 0x439
	s_waitcnt lgkmcnt(0)
	v_cmp_gt_u64_e64 s[0:1], s[2:3], v[26:27]
	v_cmp_le_u64_e64 s[2:3], s[2:3], v[26:27]
                                        ; implicit-def: $vgpr28
	s_and_saveexec_b64 s[14:15], s[2:3]
	s_xor_b64 s[2:3], exec, s[14:15]
; %bb.10:
	s_mov_b32 s14, 0x25ed098
	v_mul_hi_u32 v2, v0, s14
	v_mul_u32_u24_e32 v2, 0x6c, v2
	v_sub_u32_e32 v28, v0, v2
                                        ; implicit-def: $vgpr0
                                        ; implicit-def: $vgpr2_vgpr3
; %bb.11:
	s_or_saveexec_b64 s[2:3], s[2:3]
	s_load_dwordx2 s[10:11], s[10:11], 0x0
	v_cndmask_b32_e32 v38, 0, v1, vcc
	v_lshlrev_b32_e32 v35, 3, v38
	s_xor_b64 exec, exec, s[2:3]
	s_cbranch_execz .LBB0_15
; %bb.12:
	s_add_u32 s12, s12, s16
	s_addc_u32 s13, s13, s17
	s_load_dwordx2 s[12:13], s[12:13], 0x0
	s_mov_b32 s14, 0x25ed098
	s_waitcnt lgkmcnt(0)
	v_mul_lo_u32 v1, s13, v26
	v_mul_lo_u32 v6, s12, v27
	v_mad_u64_u32 v[4:5], s[12:13], s12, v26, 0
	v_add3_u32 v5, v5, v6, v1
	v_mul_hi_u32 v1, v0, s14
	v_mul_u32_u24_e32 v1, 0x6c, v1
	v_sub_u32_e32 v28, v0, v1
	v_lshl_add_u64 v[0:1], v[4:5], 3, s[4:5]
	v_lshl_add_u64 v[0:1], v[2:3], 3, v[0:1]
	v_lshlrev_b32_e32 v2, 3, v28
	v_mov_b32_e32 v3, 0
	v_lshl_add_u64 v[4:5], v[0:1], 0, v[2:3]
	s_movk_i32 s4, 0x1000
	v_add_co_u32_e32 v14, vcc, s4, v4
	global_load_dwordx2 v[6:7], v[4:5], off
	global_load_dwordx2 v[8:9], v[4:5], off offset:864
	global_load_dwordx2 v[10:11], v[4:5], off offset:1728
	;; [unrolled: 1-line block ×3, first 2 shown]
	v_addc_co_u32_e32 v15, vcc, 0, v5, vcc
	global_load_dwordx2 v[16:17], v[4:5], off offset:3456
	global_load_dwordx2 v[18:19], v[14:15], off offset:224
	;; [unrolled: 1-line block ×6, first 2 shown]
	s_movk_i32 s4, 0x6b
	v_add3_u32 v2, 0, v35, v2
	v_cmp_eq_u32_e32 vcc, s4, v28
	v_add_u32_e32 v3, 0x400, v2
	v_add_u32_e32 v4, 0xc00, v2
	v_add_u32_e32 v5, 0x1000, v2
	v_add_u32_e32 v14, 0x1800, v2
	s_waitcnt vmcnt(8)
	ds_write2_b64 v2, v[6:7], v[8:9] offset1:108
	s_waitcnt vmcnt(6)
	ds_write2_b64 v3, v[10:11], v[12:13] offset0:88 offset1:196
	s_waitcnt vmcnt(4)
	ds_write2_b64 v4, v[16:17], v[18:19] offset0:48 offset1:156
	;; [unrolled: 2-line block ×4, first 2 shown]
	s_and_saveexec_b64 s[4:5], vcc
	s_cbranch_execz .LBB0_14
; %bb.13:
	v_add_co_u32_e32 v0, vcc, 0x2000, v0
	v_mov_b32_e32 v28, 0x6b
	s_nop 0
	v_addc_co_u32_e32 v1, vcc, 0, v1, vcc
	global_load_dwordx2 v[0:1], v[0:1], off offset:448
	s_waitcnt vmcnt(0)
	ds_write_b64 v2, v[0:1] offset:7784
.LBB0_14:
	s_or_b64 exec, exec, s[4:5]
.LBB0_15:
	s_or_b64 exec, exec, s[2:3]
	v_lshl_add_u32 v34, v38, 3, 0
	v_lshlrev_b32_e32 v0, 3, v28
	v_add_u32_e32 v36, v34, v0
	s_waitcnt lgkmcnt(0)
	s_barrier
	v_sub_u32_e32 v4, v34, v0
	ds_read_b32 v1, v36
	ds_read_b32 v2, v4 offset:8640
	s_add_u32 s2, s8, 0x2190
	s_addc_u32 s3, s9, 0
	v_cmp_ne_u32_e32 vcc, 0, v28
	s_waitcnt lgkmcnt(0)
	v_add_f32_e32 v0, v2, v1
	v_sub_f32_e32 v1, v1, v2
                                        ; implicit-def: $vgpr2_vgpr3
	s_and_saveexec_b64 s[4:5], vcc
	s_xor_b64 s[4:5], exec, s[4:5]
	s_cbranch_execz .LBB0_17
; %bb.16:
	v_mov_b32_e32 v29, 0
	v_lshl_add_u64 v[2:3], v[28:29], 3, s[2:3]
	global_load_dwordx2 v[2:3], v[2:3], off
	ds_read_b32 v5, v4 offset:8644
	ds_read_b32 v9, v36 offset:4
	v_mov_b32_e32 v8, v1
	v_mov_b32_e32 v7, v1
	s_waitcnt lgkmcnt(0)
	v_add_f32_e32 v6, v5, v9
	v_sub_f32_e32 v5, v9, v5
	v_mov_b32_e32 v9, v6
	v_mov_b32_e32 v1, v5
	s_waitcnt vmcnt(0)
	v_pk_mul_f32 v[10:11], v[8:9], v[2:3] op_sel:[0,1]
	v_pk_fma_f32 v[8:9], v[8:9], v[2:3], v[0:1] op_sel:[0,1,0]
	v_mov_b32_e32 v1, v11
	v_mov_b32_e32 v11, v5
	v_pk_fma_f32 v[12:13], v[2:3], v[6:7], v[8:9] neg_lo:[1,0,0] neg_hi:[1,0,0]
	v_pk_fma_f32 v[8:9], v[2:3], v[6:7], v[8:9] op_sel_hi:[0,1,1]
	v_pk_add_f32 v[0:1], v[0:1], v[10:11] neg_lo:[0,1] neg_hi:[0,1]
	v_mov_b32_e32 v13, v9
	v_pk_fma_f32 v[0:1], v[2:3], v[6:7], v[0:1] op_sel_hi:[0,1,1]
	ds_write_b64 v36, v[12:13]
	ds_write_b64 v4, v[0:1] offset:8640
	v_mov_b64_e32 v[2:3], v[28:29]
                                        ; implicit-def: $vgpr0
.LBB0_17:
	s_andn2_saveexec_b64 s[4:5], s[4:5]
	s_cbranch_execz .LBB0_19
; %bb.18:
	ds_write_b64 v36, v[0:1]
	ds_read_b64 v[0:1], v34 offset:4320
	s_mov_b32 s12, 2.0
	s_mov_b32 s13, -2.0
	v_mov_b64_e32 v[2:3], 0
	s_waitcnt lgkmcnt(0)
	v_pk_mul_f32 v[0:1], v[0:1], s[12:13]
	ds_write_b64 v34, v[0:1] offset:4320
.LBB0_19:
	s_or_b64 exec, exec, s[4:5]
	v_lshl_add_u64 v[0:1], v[2:3], 3, s[2:3]
	global_load_dwordx2 v[2:3], v[0:1], off offset:864
	global_load_dwordx2 v[6:7], v[0:1], off offset:1728
	;; [unrolled: 1-line block ×4, first 2 shown]
	ds_read_b64 v[0:1], v4 offset:7776
	ds_read_b64 v[12:13], v36 offset:864
	v_lshl_add_u32 v5, v28, 3, 0
	v_add_u32_e32 v29, v5, v35
	v_add_u32_e32 v39, 0x800, v29
	v_mad_u32_u24 v37, v28, 40, v5
	s_waitcnt lgkmcnt(0)
	v_pk_add_f32 v[14:15], v[12:13], v[0:1]
	v_pk_add_f32 v[0:1], v[12:13], v[0:1] neg_lo:[0,1] neg_hi:[0,1]
	v_mov_b32_e32 v12, v15
	v_mov_b32_e32 v13, v0
	;; [unrolled: 1-line block ×3, first 2 shown]
	s_mov_b32 s2, 0x3f5db3d7
	s_mov_b32 s3, 0.5
	s_mov_b32 s4, s3
	s_mov_b32 s5, s2
	v_add_u32_e32 v51, v37, v35
	s_waitcnt vmcnt(3)
	v_pk_mul_f32 v[16:17], v[12:13], v[2:3] op_sel:[0,1]
	s_nop 0
	v_pk_add_f32 v[18:19], v[14:15], v[16:17] op_sel:[0,1] op_sel_hi:[1,0]
	v_mov_b32_e32 v15, v16
	v_mov_b32_e32 v0, v17
	v_pk_fma_f32 v[16:17], v[2:3], v[12:13], v[18:19] neg_lo:[1,0,0] neg_hi:[1,0,0]
	v_pk_fma_f32 v[18:19], v[2:3], v[12:13], v[18:19] op_sel_hi:[0,1,1]
	v_pk_add_f32 v[0:1], v[14:15], v[0:1] neg_lo:[0,1] neg_hi:[0,1]
	v_mov_b32_e32 v17, v19
	v_pk_fma_f32 v[0:1], v[2:3], v[12:13], v[0:1] op_sel_hi:[0,1,1]
	ds_write_b64 v36, v[16:17] offset:864
	ds_write_b64 v4, v[0:1] offset:7776
	ds_read_b64 v[0:1], v4 offset:6912
	ds_read_b64 v[2:3], v36 offset:1728
	s_waitcnt lgkmcnt(0)
	v_pk_add_f32 v[12:13], v[2:3], v[0:1]
	v_pk_add_f32 v[0:1], v[2:3], v[0:1] neg_lo:[0,1] neg_hi:[0,1]
	v_mov_b32_e32 v2, v13
	v_mov_b32_e32 v3, v0
	;; [unrolled: 1-line block ×3, first 2 shown]
	s_waitcnt vmcnt(2)
	v_pk_mul_f32 v[14:15], v[2:3], v[6:7] op_sel:[0,1]
	s_nop 0
	v_pk_add_f32 v[16:17], v[12:13], v[14:15] op_sel:[0,1] op_sel_hi:[1,0]
	v_mov_b32_e32 v13, v14
	v_mov_b32_e32 v0, v15
	v_pk_fma_f32 v[14:15], v[6:7], v[2:3], v[16:17] neg_lo:[1,0,0] neg_hi:[1,0,0]
	v_pk_fma_f32 v[16:17], v[6:7], v[2:3], v[16:17] op_sel_hi:[0,1,1]
	v_pk_add_f32 v[0:1], v[12:13], v[0:1] neg_lo:[0,1] neg_hi:[0,1]
	v_mov_b32_e32 v15, v17
	v_pk_fma_f32 v[0:1], v[6:7], v[2:3], v[0:1] op_sel_hi:[0,1,1]
	ds_write_b64 v36, v[14:15] offset:1728
	ds_write_b64 v4, v[0:1] offset:6912
	ds_read_b64 v[0:1], v4 offset:6048
	ds_read_b64 v[2:3], v36 offset:2592
	v_add_u32_e32 v16, 0x1800, v29
	s_waitcnt lgkmcnt(0)
	v_pk_add_f32 v[6:7], v[2:3], v[0:1]
	v_pk_add_f32 v[0:1], v[2:3], v[0:1] neg_lo:[0,1] neg_hi:[0,1]
	v_mov_b32_e32 v2, v7
	v_mov_b32_e32 v3, v0
	;; [unrolled: 1-line block ×3, first 2 shown]
	s_waitcnt vmcnt(1)
	v_pk_mul_f32 v[12:13], v[2:3], v[8:9] op_sel:[0,1]
	s_nop 0
	v_pk_add_f32 v[14:15], v[6:7], v[12:13] op_sel:[0,1] op_sel_hi:[1,0]
	v_mov_b32_e32 v7, v12
	v_mov_b32_e32 v0, v13
	v_pk_fma_f32 v[12:13], v[8:9], v[2:3], v[14:15] neg_lo:[1,0,0] neg_hi:[1,0,0]
	v_pk_fma_f32 v[14:15], v[8:9], v[2:3], v[14:15] op_sel_hi:[0,1,1]
	v_pk_add_f32 v[0:1], v[6:7], v[0:1] neg_lo:[0,1] neg_hi:[0,1]
	v_mov_b32_e32 v13, v15
	v_pk_fma_f32 v[0:1], v[8:9], v[2:3], v[0:1] op_sel_hi:[0,1,1]
	ds_write_b64 v36, v[12:13] offset:2592
	ds_write_b64 v4, v[0:1] offset:6048
	ds_read_b64 v[2:3], v4 offset:5184
	ds_read_b64 v[6:7], v36 offset:3456
	v_add_u32_e32 v1, 0x1000, v29
	v_add_u32_e32 v0, 0xc00, v29
	s_waitcnt lgkmcnt(0)
	v_pk_add_f32 v[8:9], v[6:7], v[2:3]
	v_pk_add_f32 v[2:3], v[6:7], v[2:3] neg_lo:[0,1] neg_hi:[0,1]
	v_mov_b32_e32 v6, v9
	v_mov_b32_e32 v7, v2
	v_mov_b32_e32 v9, v3
	s_waitcnt vmcnt(0)
	v_pk_mul_f32 v[12:13], v[6:7], v[10:11] op_sel:[0,1]
	s_nop 0
	v_pk_add_f32 v[14:15], v[8:9], v[12:13] op_sel:[0,1] op_sel_hi:[1,0]
	v_mov_b32_e32 v9, v12
	v_mov_b32_e32 v2, v13
	v_pk_fma_f32 v[12:13], v[10:11], v[6:7], v[14:15] neg_lo:[1,0,0] neg_hi:[1,0,0]
	v_pk_fma_f32 v[14:15], v[10:11], v[6:7], v[14:15] op_sel_hi:[0,1,1]
	v_pk_add_f32 v[2:3], v[8:9], v[2:3] neg_lo:[0,1] neg_hi:[0,1]
	v_mov_b32_e32 v13, v15
	v_pk_fma_f32 v[2:3], v[10:11], v[6:7], v[2:3] op_sel_hi:[0,1,1]
	ds_write_b64 v36, v[12:13] offset:3456
	ds_write_b64 v4, v[2:3] offset:5184
	s_waitcnt lgkmcnt(0)
	s_barrier
	s_barrier
	ds_read2_b64 v[8:11], v39 offset0:32 offset1:104
	ds_read2_b64 v[20:23], v1 offset0:136 offset1:208
	;; [unrolled: 1-line block ×5, first 2 shown]
	ds_read_b64 v[30:31], v29 offset:8064
	ds_read_b64 v[2:3], v36
	s_waitcnt lgkmcnt(5)
	v_pk_add_f32 v[48:49], v[10:11], v[22:23]
	s_waitcnt lgkmcnt(0)
	v_pk_add_f32 v[44:45], v[14:15], v[18:19]
	v_pk_add_f32 v[32:33], v[20:21], v[30:31]
	;; [unrolled: 1-line block ×3, first 2 shown]
	v_pk_add_f32 v[46:47], v[14:15], v[18:19] neg_lo:[0,1] neg_hi:[0,1]
	v_pk_add_f32 v[14:15], v[6:7], v[14:15]
	v_pk_add_f32 v[10:11], v[10:11], v[22:23] neg_lo:[0,1] neg_hi:[0,1]
	v_pk_add_f32 v[42:43], v[42:43], v[22:23]
	v_fma_f32 v22, -0.5, v44, v6
	v_fma_f32 v44, -0.5, v45, v7
	v_pk_add_f32 v[40:41], v[20:21], v[30:31] neg_lo:[0,1] neg_hi:[0,1]
	v_fma_f32 v0, -0.5, v32, v8
	v_fma_f32 v50, -0.5, v33, v9
	v_pk_add_f32 v[52:53], v[14:15], v[18:19]
	v_pk_fma_f32 v[2:3], v[48:49], 0.5, v[2:3] op_sel_hi:[1,0,1] neg_lo:[1,0,0] neg_hi:[1,0,0]
	v_pk_mul_f32 v[6:7], v[10:11], s[2:3] op_sel_hi:[1,0]
	v_fmamk_f32 v14, v46, 0x3f5db3d7, v44
	v_fmamk_f32 v11, v41, 0xbf5db3d7, v0
	v_fmac_f32_e32 v0, 0x3f5db3d7, v41
	v_fmamk_f32 v23, v40, 0x3f5db3d7, v50
	v_fmac_f32_e32 v50, 0xbf5db3d7, v40
	v_fmamk_f32 v10, v47, 0xbf5db3d7, v22
	v_pk_add_f32 v[40:41], v[2:3], v[6:7] op_sel:[0,1] op_sel_hi:[1,0] neg_lo:[0,1] neg_hi:[0,1]
	v_pk_add_f32 v[48:49], v[2:3], v[6:7] op_sel:[0,1] op_sel_hi:[1,0]
	v_pk_mul_f32 v[2:3], v[14:15], s[2:3] op_sel_hi:[0,1]
	v_pk_fma_f32 v[54:55], v[10:11], s[4:5], v[2:3] neg_lo:[0,0,1] neg_hi:[0,0,1]
	v_pk_fma_f32 v[2:3], v[10:11], s[4:5], v[2:3] op_sel_hi:[0,1,1]
	v_mov_b32_e32 v56, v40
	v_mov_b32_e32 v57, v49
	;; [unrolled: 1-line block ×3, first 2 shown]
	v_pk_add_f32 v[18:19], v[42:43], v[52:53]
	v_pk_add_f32 v[2:3], v[56:57], v[54:55]
	s_barrier
	ds_write2_b64 v51, v[18:19], v[2:3] offset1:1
	v_pk_add_f32 v[2:3], v[12:13], v[16:17]
	v_pk_add_f32 v[6:7], v[12:13], v[16:17] neg_lo:[0,1] neg_hi:[0,1]
	v_pk_fma_f32 v[2:3], v[2:3], 0.5, v[4:5] op_sel_hi:[1,0,1] neg_lo:[1,0,0] neg_hi:[1,0,0]
	v_pk_mul_f32 v[6:7], v[6:7], s[2:3] op_sel_hi:[1,0]
	v_mul_f32_e32 v15, 0xbf5db3d7, v23
	v_pk_add_f32 v[32:33], v[2:3], v[6:7] op_sel:[0,1] op_sel_hi:[1,0] neg_lo:[0,1] neg_hi:[0,1]
	v_pk_add_f32 v[6:7], v[6:7], v[2:3] op_sel:[1,0] op_sel_hi:[0,1]
	v_mul_f32_e32 v14, 0.5, v23
	s_mov_b32 s4, -0.5
	v_pk_mul_f32 v[2:3], v[50:51], s[2:3] op_sel_hi:[0,1]
	v_fmac_f32_e32 v44, 0xbf5db3d7, v46
	v_fmac_f32_e32 v15, 0.5, v11
	v_fmac_f32_e32 v14, 0x3f5db3d7, v11
	v_pk_fma_f32 v[10:11], v[0:1], s[4:5], v[2:3] op_sel_hi:[0,1,1] neg_lo:[0,0,1] neg_hi:[0,0,1]
	v_fmac_f32_e32 v22, 0x3f5db3d7, v47
	v_pk_mul_f32 v[2:3], v[44:45], s[2:3] op_sel_hi:[0,1]
	v_pk_fma_f32 v[44:45], v[22:23], s[4:5], v[2:3] op_sel_hi:[0,1,1] neg_lo:[0,0,1] neg_hi:[0,0,1]
	v_mov_b32_e32 v49, v41
	v_mov_b32_e32 v18, v6
	;; [unrolled: 1-line block ×3, first 2 shown]
	v_pk_add_f32 v[40:41], v[42:43], v[52:53] neg_lo:[0,1] neg_hi:[0,1]
	v_pk_add_f32 v[42:43], v[48:49], v[44:45]
	s_movk_i32 s2, 0x48
	v_sub_f32_e32 v0, v32, v15
	v_sub_f32_e32 v22, v7, v14
	v_pk_add_f32 v[2:3], v[18:19], v[10:11] neg_lo:[0,1] neg_hi:[0,1]
	ds_write2_b64 v51, v[42:43], v[40:41] offset0:2 offset1:3
	v_pk_add_f32 v[40:41], v[56:57], v[54:55] neg_lo:[0,1] neg_hi:[0,1]
	v_pk_add_f32 v[42:43], v[48:49], v[44:45] neg_lo:[0,1] neg_hi:[0,1]
	v_cmp_gt_u32_e32 vcc, s2, v28
	ds_write2_b64 v51, v[40:41], v[42:43] offset0:4 offset1:5
	s_and_saveexec_b64 s[2:3], vcc
	s_cbranch_execz .LBB0_21
; %bb.20:
	v_pk_add_f32 v[8:9], v[8:9], v[20:21]
	v_pk_add_f32 v[4:5], v[4:5], v[12:13]
	v_add_f32_e32 v18, v32, v15
	v_lshl_add_u32 v20, v38, 3, v37
	v_pk_add_f32 v[4:5], v[4:5], v[16:17]
	v_pk_add_f32 v[8:9], v[8:9], v[30:31]
	v_mov_b32_e32 v15, v10
	v_sub_f32_e32 v16, v5, v9
	v_pk_add_f32 v[12:13], v[4:5], v[8:9]
	v_add_u32_e32 v5, 0x144c, v20
	v_pk_add_f32 v[6:7], v[6:7], v[14:15] op_sel:[1,0] op_sel_hi:[0,1]
	ds_write2_b32 v5, v6, v7 offset1:1
	v_mov_b32_e32 v6, v19
	v_mov_b32_e32 v7, v4
	;; [unrolled: 1-line block ×4, first 2 shown]
	v_pk_add_f32 v[8:9], v[6:7], v[4:5]
	v_pk_add_f32 v[4:5], v[6:7], v[4:5] neg_lo:[0,1] neg_hi:[0,1]
	v_add_u32_e32 v10, 0x1454, v20
	v_add_u32_e32 v4, 0x145c, v20
	ds_write2_b32 v4, v16, v0 offset1:1
	v_add_u32_e32 v4, 0x1400, v20
	ds_write_b64 v20, v[12:13] offset:5184
	ds_write2_b32 v10, v8, v5 offset1:1
	ds_write2_b32 v4, v18, v22 offset0:18 offset1:25
	ds_write_b64 v20, v[2:3] offset:5224
.LBB0_21:
	s_or_b64 exec, exec, s[2:3]
	s_movk_i32 s2, 0xab
	v_mul_lo_u16_sdwa v4, v28, s2 dst_sel:DWORD dst_unused:UNUSED_PAD src0_sel:BYTE_0 src1_sel:DWORD
	v_lshrrev_b16_e32 v23, 10, v4
	v_mul_lo_u16_e32 v4, 6, v23
	v_sub_u16_e32 v55, v28, v4
	v_mov_b32_e32 v4, 9
	v_mul_u32_u24_sdwa v4, v55, v4 dst_sel:DWORD dst_unused:UNUSED_PAD src0_sel:BYTE_0 src1_sel:DWORD
	v_lshlrev_b32_e32 v30, 3, v4
	s_waitcnt lgkmcnt(0)
	s_barrier
	global_load_dwordx4 v[4:7], v30, s[8:9]
	global_load_dwordx4 v[8:11], v30, s[8:9] offset:16
	global_load_dwordx4 v[12:15], v30, s[8:9] offset:32
	;; [unrolled: 1-line block ×3, first 2 shown]
	global_load_dwordx2 v[20:21], v30, s[8:9] offset:64
	ds_read2_b64 v[30:33], v29 offset0:108 offset1:216
	ds_read2_b64 v[38:41], v39 offset0:68 offset1:176
	;; [unrolled: 1-line block ×3, first 2 shown]
	v_add_u32_e32 v46, 0x1400, v29
	ds_read_b64 v[50:51], v29 offset:7776
	ds_read_b64 v[52:53], v36
	ds_read2_b64 v[46:49], v46 offset0:116 offset1:224
	v_mov_b32_e32 v57, 3
	v_lshlrev_b32_sdwa v55, v57, v55 dst_sel:DWORD dst_unused:UNUSED_PAD src0_sel:DWORD src1_sel:BYTE_0
	s_waitcnt lgkmcnt(3)
	v_mov_b32_e32 v54, v45
	s_waitcnt lgkmcnt(2)
	v_mov_b32_e32 v56, v51
	;; [unrolled: 2-line block ×3, first 2 shown]
	s_movk_i32 s2, 0x1e0
	v_mad_u32_u24 v23, v23, s2, 0
	s_mov_b32 s2, 0x3e9e377a
	s_mov_b32 s3, 0x3f167918
	;; [unrolled: 1-line block ×7, first 2 shown]
	v_add3_u32 v23, v23, v55, v35
	s_mov_b32 s16, s2
	s_mov_b32 s17, s4
	s_barrier
	s_waitcnt vmcnt(4)
	v_pk_mul_f32 v[60:61], v[4:5], v[30:31] op_sel:[0,1]
	v_pk_mul_f32 v[62:63], v[6:7], v[32:33] op_sel:[0,1]
	v_pk_fma_f32 v[64:65], v[4:5], v[30:31], v[60:61] op_sel:[0,0,1] op_sel_hi:[1,0,0]
	v_pk_fma_f32 v[4:5], v[4:5], v[30:31], v[60:61] op_sel:[0,0,1] op_sel_hi:[1,0,0] neg_lo:[1,0,0] neg_hi:[1,0,0]
	v_pk_fma_f32 v[30:31], v[6:7], v[32:33], v[62:63] op_sel:[0,0,1] op_sel_hi:[1,1,0]
	v_pk_fma_f32 v[6:7], v[6:7], v[32:33], v[62:63] op_sel:[0,0,1] op_sel_hi:[1,0,0] neg_lo:[1,0,0] neg_hi:[1,0,0]
	s_waitcnt vmcnt(3)
	v_pk_mul_f32 v[32:33], v[8:9], v[38:39] op_sel:[0,1]
	v_pk_mul_f32 v[60:61], v[10:11], v[40:41] op_sel:[0,1]
	v_pk_fma_f32 v[62:63], v[8:9], v[38:39], v[32:33] op_sel:[0,0,1] op_sel_hi:[1,0,0]
	v_pk_fma_f32 v[8:9], v[8:9], v[38:39], v[32:33] op_sel:[0,0,1] op_sel_hi:[1,0,0] neg_lo:[1,0,0] neg_hi:[1,0,0]
	s_waitcnt vmcnt(2)
	v_pk_mul_f32 v[38:39], v[44:45], v[14:15]
	v_mov_b32_e32 v4, v15
	v_pk_fma_f32 v[32:33], v[10:11], v[40:41], v[60:61] op_sel:[0,0,1] op_sel_hi:[1,1,0]
	v_pk_fma_f32 v[10:11], v[10:11], v[40:41], v[60:61] op_sel:[0,0,1] op_sel_hi:[1,0,0] neg_lo:[1,0,0] neg_hi:[1,0,0]
	v_pk_mul_f32 v[40:41], v[12:13], v[42:43] op_sel:[0,1]
	v_mov_b32_e32 v6, v39
	v_pk_mul_f32 v[38:39], v[44:45], v[4:5]
	v_pk_fma_f32 v[60:61], v[12:13], v[42:43], v[40:41] op_sel:[0,0,1] op_sel_hi:[1,0,0]
	v_pk_fma_f32 v[12:13], v[12:13], v[42:43], v[40:41] op_sel:[0,0,1] op_sel_hi:[1,0,0] neg_lo:[1,0,0] neg_hi:[1,0,0]
	v_pk_fma_f32 v[40:41], v[44:45], v[14:15], v[6:7]
	s_waitcnt vmcnt(1)
	v_pk_mul_f32 v[42:43], v[46:47], v[16:17]
	v_mov_b32_e32 v4, v17
	v_pk_fma_f32 v[14:15], v[54:55], v[14:15], v[38:39] neg_lo:[0,0,1] neg_hi:[0,0,1]
	s_waitcnt vmcnt(0)
	v_pk_mul_f32 v[38:39], v[50:51], v[20:21]
	v_mov_b32_e32 v6, v21
	v_mov_b32_e32 v8, v19
	;; [unrolled: 1-line block ×5, first 2 shown]
	v_pk_mul_f32 v[42:43], v[46:47], v[4:5]
	v_pk_mul_f32 v[46:47], v[50:51], v[6:7]
	v_pk_mul_f32 v[50:51], v[48:49], v[8:9] op_sel_hi:[1,0]
	v_pk_add_f32 v[38:39], v[44:45], v[38:39]
	v_mov_b32_e32 v31, v7
	v_mov_b32_e32 v33, v11
	v_pk_fma_f32 v[6:7], v[48:49], v[18:19], v[50:51] op_sel:[0,0,1] op_sel_hi:[1,1,0]
	v_pk_fma_f32 v[10:11], v[48:49], v[18:19], v[50:51] op_sel:[0,0,1] op_sel_hi:[1,0,0] neg_lo:[0,0,1] neg_hi:[0,0,1]
	v_mov_b32_e32 v18, v60
	v_mov_b32_e32 v10, v62
	;; [unrolled: 1-line block ×5, first 2 shown]
	v_pk_fma_f32 v[20:21], v[56:57], v[20:21], v[46:47] neg_lo:[0,0,1] neg_hi:[0,0,1]
	v_mov_b32_e32 v4, v9
	v_pk_add_f32 v[50:51], v[10:11], v[18:19] neg_lo:[0,1] neg_hi:[0,1]
	v_pk_add_f32 v[10:11], v[18:19], v[10:11] neg_lo:[0,1] neg_hi:[0,1]
	v_pk_fma_f32 v[16:17], v[58:59], v[16:17], v[42:43] neg_lo:[0,0,1] neg_hi:[0,0,1]
	v_mov_b32_e32 v8, v13
	v_add_f32_e32 v12, v60, v38
	v_pk_add_f32 v[44:45], v[4:5], v[20:21] neg_lo:[0,1] neg_hi:[0,1]
	v_mov_b32_e32 v4, v51
	v_mov_b32_e32 v18, v11
	;; [unrolled: 1-line block ×4, first 2 shown]
	v_pk_add_f32 v[46:47], v[8:9], v[16:17] neg_lo:[0,1] neg_hi:[0,1]
	v_fma_f32 v8, -0.5, v12, v64
	v_pk_add_f32 v[50:51], v[50:51], v[4:5]
	v_add_f32_e32 v17, v62, v39
	v_mov_b32_e32 v21, v64
	v_pk_add_f32 v[10:11], v[10:11], v[18:19]
	v_mov_b32_e32 v61, v13
	v_fmamk_f32 v12, v44, 0xbf737871, v8
	v_mov_b32_e32 v51, v46
	v_fmac_f32_e32 v8, 0x3f737871, v44
	v_fmac_f32_e32 v21, -0.5, v17
	v_mov_b32_e32 v11, v44
	v_pk_add_f32 v[44:45], v[64:65], v[62:63]
	v_pk_mul_f32 v[50:51], v[50:51], s[2:3]
	v_fmamk_f32 v17, v46, 0x3f737871, v21
	v_pk_mul_f32 v[10:11], v[10:11], s[2:3]
	v_fmac_f32_e32 v21, 0xbf737871, v46
	v_pk_add_f32 v[44:45], v[44:45], v[60:61]
	v_mov_b32_e32 v46, v38
	v_mov_b32_e32 v47, v16
	v_sub_f32_e32 v4, v12, v51
	v_add_f32_e32 v8, v51, v8
	v_mov_b32_e32 v12, v39
	v_sub_f32_e32 v17, v17, v11
	v_add_f32_e32 v11, v11, v21
	v_pk_add_f32 v[44:45], v[44:45], v[46:47]
	v_mov_b32_e32 v46, v39
	v_mov_b32_e32 v47, v20
	v_add_f32_e32 v4, v50, v4
	v_add_f32_e32 v8, v50, v8
	v_add_f32_e32 v18, v10, v17
	v_add_f32_e32 v10, v10, v11
	v_pk_add_f32 v[44:45], v[44:45], v[46:47]
	v_add_f32_e32 v11, v13, v16
	v_pk_add_f32 v[46:47], v[62:63], v[12:13] neg_lo:[0,1] neg_hi:[0,1]
	v_mov_b32_e32 v50, v9
	v_mov_b32_e32 v51, v20
	;; [unrolled: 1-line block ×4, first 2 shown]
	v_pk_add_f32 v[16:17], v[50:51], v[12:13] neg_lo:[0,1] neg_hi:[0,1]
	v_pk_add_f32 v[38:39], v[60:61], v[38:39] neg_lo:[0,1] neg_hi:[0,1]
	v_mov_b32_e32 v54, v17
	v_pk_add_f32 v[16:17], v[16:17], v[54:55]
	v_pk_add_f32 v[12:13], v[12:13], v[50:51] neg_lo:[0,1] neg_hi:[0,1]
	v_fma_f32 v11, -0.5, v11, v5
	v_mov_b32_e32 v17, v38
	v_add_f32_e32 v9, v9, v20
	v_mov_b32_e32 v20, v13
	v_fmamk_f32 v19, v46, 0x3f737871, v11
	v_pk_mul_f32 v[16:17], v[16:17], s[2:3]
	v_pk_add_f32 v[12:13], v[12:13], v[20:21]
	v_add_f32_e32 v19, v17, v19
	v_fmac_f32_e32 v5, -0.5, v9
	v_mov_b32_e32 v13, v46
	v_pk_add_f32 v[42:43], v[52:53], v[30:31]
	v_mov_b32_e32 v41, v14
	v_add_f32_e32 v54, v16, v19
	v_fmamk_f32 v9, v38, 0xbf737871, v5
	v_pk_mul_f32 v[12:13], v[12:13], s[2:3]
	v_fmac_f32_e32 v5, 0x3f737871, v38
	v_pk_add_f32 v[14:15], v[30:31], v[32:33] neg_lo:[0,1] neg_hi:[0,1]
	v_pk_add_f32 v[42:43], v[42:43], v[32:33]
	v_pk_add_f32 v[48:49], v[6:7], v[40:41] neg_lo:[0,1] neg_hi:[0,1]
	v_fmac_f32_e32 v11, 0xbf737871, v46
	v_add_f32_e32 v9, v13, v9
	v_sub_f32_e32 v5, v5, v13
	v_pk_mul_f32 v[46:47], v[54:55], s[14:15] op_sel_hi:[0,1]
	v_pk_add_f32 v[42:43], v[42:43], v[40:41]
	v_add_f32_e32 v20, v12, v9
	v_add_f32_e32 v12, v12, v5
	v_pk_add_f32 v[14:15], v[14:15], v[48:49]
	v_pk_fma_f32 v[48:49], v[4:5], s[12:13], v[46:47] neg_lo:[0,0,1] neg_hi:[0,0,1]
	v_pk_fma_f32 v[4:5], v[4:5], s[12:13], v[46:47] op_sel_hi:[0,1,1]
	v_pk_add_f32 v[46:47], v[32:33], v[40:41] neg_lo:[0,1] neg_hi:[0,1]
	v_pk_add_f32 v[50:51], v[30:31], v[6:7]
	v_pk_add_f32 v[42:43], v[42:43], v[6:7]
	v_mov_b32_e32 v49, v5
	v_pk_add_f32 v[4:5], v[30:31], v[6:7] neg_lo:[0,1] neg_hi:[0,1]
	v_pk_fma_f32 v[50:51], v[50:51], 0.5, v[52:53] op_sel_hi:[1,0,1] neg_lo:[1,0,0] neg_hi:[1,0,0]
	v_pk_mul_f32 v[54:55], v[46:47], s[4:5] op_sel_hi:[1,0]
	s_mov_b32 s12, s3
	v_pk_add_f32 v[30:31], v[32:33], v[30:31] neg_lo:[0,1] neg_hi:[0,1]
	v_pk_add_f32 v[6:7], v[40:41], v[6:7] neg_lo:[0,1] neg_hi:[0,1]
	v_pk_mul_f32 v[56:57], v[4:5], s[12:13] op_sel_hi:[1,0]
	v_pk_add_f32 v[6:7], v[30:31], v[6:7]
	v_pk_add_f32 v[30:31], v[50:51], v[54:55] op_sel:[0,1] op_sel_hi:[1,0]
	v_pk_add_f32 v[50:51], v[50:51], v[54:55] op_sel:[0,1] op_sel_hi:[1,0] neg_lo:[0,1] neg_hi:[0,1]
	s_mov_b32 s5, s2
	v_pk_add_f32 v[50:51], v[50:51], v[56:57] op_sel:[0,1] op_sel_hi:[1,0]
	v_pk_add_f32 v[30:31], v[30:31], v[56:57] op_sel:[0,1] op_sel_hi:[1,0] neg_lo:[0,1] neg_hi:[0,1]
	v_pk_mul_f32 v[20:21], v[20:21], s[4:5] op_sel_hi:[0,1]
	v_sub_f32_e32 v11, v11, v17
	v_mov_b32_e32 v54, v30
	v_mov_b32_e32 v55, v51
	v_pk_fma_f32 v[56:57], v[18:19], s[16:17], v[20:21] neg_lo:[0,0,1] neg_hi:[0,0,1]
	v_pk_fma_f32 v[18:19], v[18:19], s[16:17], v[20:21] op_sel_hi:[0,1,1]
	v_pk_mul_f32 v[20:21], v[46:47], s[12:13] op_sel_hi:[1,0]
	s_mov_b32 s12, 0xbe9e377a
	s_mov_b32 s13, s4
	v_pk_mul_f32 v[12:13], v[12:13], s[4:5] op_sel_hi:[0,1]
	v_mov_b32_e32 v51, v31
	v_pk_fma_f32 v[54:55], v[6:7], s[2:3], v[54:55] op_sel_hi:[1,0,1]
	v_mov_b32_e32 v57, v19
	v_pk_fma_f32 v[12:13], v[10:11], s[12:13], v[12:13] op_sel_hi:[0,1,1] neg_lo:[0,0,1] neg_hi:[0,0,1]
	v_pk_fma_f32 v[6:7], v[6:7], s[2:3], v[50:51] op_sel_hi:[1,0,1]
	v_add_f32_e32 v16, v16, v11
	v_pk_add_f32 v[18:19], v[54:55], v[56:57]
	v_pk_add_f32 v[10:11], v[6:7], v[12:13]
	ds_write2_b64 v23, v[18:19], v[10:11] offset0:12 offset1:18
	v_pk_add_f32 v[10:11], v[32:33], v[40:41]
	s_mov_b32 s12, 0xbf4f1bbd
	v_pk_fma_f32 v[10:11], v[10:11], 0.5, v[52:53] op_sel_hi:[1,0,1] neg_lo:[1,0,0] neg_hi:[1,0,0]
	s_mov_b32 s13, s3
	v_pk_mul_f32 v[16:17], v[16:17], s[14:15] op_sel_hi:[0,1]
	v_pk_mul_f32 v[4:5], v[4:5], s[4:5] op_sel_hi:[1,0]
	v_pk_fma_f32 v[16:17], v[8:9], s[12:13], v[16:17] op_sel_hi:[0,1,1] neg_lo:[0,0,1] neg_hi:[0,0,1]
	v_pk_add_f32 v[8:9], v[10:11], v[4:5] op_sel:[0,1] op_sel_hi:[1,0] neg_lo:[0,1] neg_hi:[0,1]
	v_pk_add_f32 v[4:5], v[10:11], v[4:5] op_sel:[0,1] op_sel_hi:[1,0]
	v_pk_add_f32 v[8:9], v[8:9], v[20:21] op_sel:[0,1] op_sel_hi:[1,0] neg_lo:[0,1] neg_hi:[0,1]
	v_pk_add_f32 v[4:5], v[4:5], v[20:21] op_sel:[0,1] op_sel_hi:[1,0]
	v_mov_b32_e32 v10, v8
	v_mov_b32_e32 v11, v5
	v_pk_fma_f32 v[10:11], v[14:15], s[2:3], v[10:11] op_sel_hi:[1,0,1]
	v_mov_b32_e32 v5, v9
	v_pk_add_f32 v[38:39], v[42:43], v[44:45]
	v_pk_fma_f32 v[4:5], v[14:15], s[2:3], v[4:5] op_sel_hi:[1,0,1]
	v_pk_add_f32 v[8:9], v[10:11], v[48:49] neg_lo:[0,1] neg_hi:[0,1]
	v_pk_add_f32 v[10:11], v[10:11], v[48:49]
	v_pk_add_f32 v[14:15], v[4:5], v[16:17]
	ds_write2_b64 v23, v[38:39], v[10:11] offset1:6
	v_pk_add_f32 v[10:11], v[42:43], v[44:45] neg_lo:[0,1] neg_hi:[0,1]
	ds_write2_b64 v23, v[14:15], v[10:11] offset0:24 offset1:30
	v_pk_add_f32 v[10:11], v[54:55], v[56:57] neg_lo:[0,1] neg_hi:[0,1]
	v_pk_add_f32 v[12:13], v[6:7], v[12:13] neg_lo:[0,1] neg_hi:[0,1]
	v_pk_add_f32 v[14:15], v[4:5], v[16:17] neg_lo:[0,1] neg_hi:[0,1]
	v_add_u32_e32 v4, 0x400, v29
	ds_write2_b64 v23, v[8:9], v[10:11] offset0:36 offset1:42
	ds_write2_b64 v23, v[12:13], v[14:15] offset0:48 offset1:54
	s_waitcnt lgkmcnt(0)
	s_barrier
	ds_read2_b64 v[16:19], v4 offset0:52 offset1:232
	ds_read2_b64 v[4:7], v1 offset0:28 offset1:208
	ds_read_b64 v[30:31], v36
	ds_read_b64 v[32:33], v29 offset:7200
	s_and_saveexec_b64 s[2:3], vcc
	s_cbranch_execz .LBB0_23
; %bb.22:
	v_add_u32_e32 v0, 0x200, v29
	ds_read2_b64 v[8:11], v0 offset0:44 offset1:224
	v_add_u32_e32 v12, 0xe00, v29
	v_add_u32_e32 v0, 0x1800, v29
	ds_read2_b64 v[0:3], v0 offset0:60 offset1:240
	ds_read2_b64 v[12:15], v12 offset0:20 offset1:200
	s_waitcnt lgkmcnt(1)
	v_mov_b32_e32 v22, v1
.LBB0_23:
	s_or_b64 exec, exec, s[2:3]
	v_subrev_u32_e32 v1, 60, v28
	v_cmp_gt_u32_e64 s[2:3], 60, v28
	v_mov_b32_e32 v21, 0
	v_add_u32_e32 v38, 0x6c, v28
	v_cndmask_b32_e64 v64, v1, v28, s[2:3]
	v_mul_i32_i24_e32 v20, 5, v64
	v_lshl_add_u64 v[20:21], v[20:21], 3, s[8:9]
	global_load_dwordx4 v[40:43], v[20:21], off offset:432
	s_movk_i32 s2, 0x89
	v_mul_lo_u16_sdwa v23, v38, s2 dst_sel:DWORD dst_unused:UNUSED_PAD src0_sel:BYTE_0 src1_sel:DWORD
	v_lshrrev_b16_e32 v23, 13, v23
	v_mul_lo_u16_e32 v39, 60, v23
	v_mov_b32_e32 v1, 5
	v_sub_u16_e32 v39, v38, v39
	v_mul_u32_u24_sdwa v1, v39, v1 dst_sel:DWORD dst_unused:UNUSED_PAD src0_sel:BYTE_0 src1_sel:DWORD
	v_lshlrev_b32_e32 v1, 3, v1
	global_load_dwordx4 v[44:47], v1, s[8:9] offset:448
	global_load_dwordx2 v[52:53], v1, s[8:9] offset:464
	v_cmp_lt_u32_e64 s[2:3], 59, v28
	s_mov_b32 s12, 0x3f5db3d7
	s_mov_b32 s13, 0.5
	s_mov_b32 s4, -0.5
	s_mov_b32 s5, s12
	s_movk_i32 s14, 0xb40
	s_waitcnt vmcnt(2) lgkmcnt(3)
	v_pk_mul_f32 v[48:49], v[40:41], v[16:17] op_sel:[0,1]
	s_nop 0
	v_pk_fma_f32 v[56:57], v[40:41], v[16:17], v[48:49] op_sel:[0,0,1] op_sel_hi:[1,0,0]
	v_pk_fma_f32 v[58:59], v[40:41], v[16:17], v[48:49] op_sel:[0,0,1] op_sel_hi:[1,0,0] neg_lo:[1,0,0] neg_hi:[1,0,0]
	global_load_dwordx4 v[48:51], v1, s[8:9] offset:432
	v_pk_mul_f32 v[54:55], v[42:43], v[18:19] op_sel:[0,1]
	v_mov_b32_e32 v57, v59
	v_pk_fma_f32 v[60:61], v[42:43], v[18:19], v[54:55] op_sel:[0,0,1] op_sel_hi:[1,1,0]
	v_pk_fma_f32 v[16:17], v[42:43], v[18:19], v[54:55] op_sel:[0,0,1] op_sel_hi:[1,0,0] neg_lo:[1,0,0] neg_hi:[1,0,0]
	global_load_dwordx4 v[40:43], v[20:21], off offset:448
	global_load_dwordx2 v[54:55], v[20:21], off offset:464
	s_waitcnt vmcnt(4)
	v_pk_mul_f32 v[18:19], v[22:23], v[46:47] op_sel_hi:[0,1]
	s_waitcnt vmcnt(3)
	v_pk_mul_f32 v[20:21], v[2:3], v[52:53] op_sel:[1,0]
	v_mov_b32_e32 v16, v11
	v_pk_fma_f32 v[62:63], v[2:3], v[52:53], v[20:21] op_sel:[0,0,1] op_sel_hi:[1,1,0]
	v_pk_fma_f32 v[2:3], v[2:3], v[52:53], v[20:21] op_sel:[0,0,1] op_sel_hi:[0,1,0] neg_lo:[1,0,0] neg_hi:[1,0,0]
	v_pk_fma_f32 v[20:21], v[0:1], v[46:47], v[18:19] op_sel:[0,0,1] op_sel_hi:[1,1,0]
	v_pk_fma_f32 v[0:1], v[0:1], v[46:47], v[18:19] op_sel:[0,0,1] op_sel_hi:[0,1,0] neg_lo:[1,0,0] neg_hi:[1,0,0]
	s_waitcnt lgkmcnt(0)
	v_mov_b32_e32 v0, v15
	v_pk_mul_f32 v[18:19], v[0:1], v[44:45] op_sel_hi:[0,1]
	v_mov_b32_e32 v0, v13
	v_mov_b32_e32 v2, 0xb40
	v_pk_fma_f32 v[46:47], v[14:15], v[44:45], v[18:19] op_sel:[0,0,1] op_sel_hi:[1,1,0]
	v_pk_fma_f32 v[14:15], v[14:15], v[44:45], v[18:19] op_sel:[0,0,1] op_sel_hi:[0,1,0] neg_lo:[1,0,0] neg_hi:[1,0,0]
	v_cndmask_b32_e64 v2, 0, v2, s[2:3]
	v_lshlrev_b32_e32 v11, 3, v64
	v_mov_b32_e32 v61, v17
	v_add_u32_e32 v2, 0, v2
	v_mov_b32_e32 v47, v15
	v_mov_b32_e32 v63, v3
	v_add3_u32 v58, v2, v11, v35
	v_mov_b32_e32 v21, v1
	v_pk_add_f32 v[14:15], v[46:47], v[62:63] neg_lo:[0,1] neg_hi:[0,1]
	s_mov_b32 s2, s13
	s_mov_b32 s3, s12
	s_barrier
	s_waitcnt vmcnt(2)
	v_pk_mul_f32 v[18:19], v[0:1], v[50:51] op_sel_hi:[0,1]
	v_pk_mul_f32 v[16:17], v[16:17], v[48:49] op_sel_hi:[0,1]
	v_pk_fma_f32 v[44:45], v[12:13], v[50:51], v[18:19] op_sel:[0,0,1] op_sel_hi:[1,1,0]
	v_pk_fma_f32 v[12:13], v[12:13], v[50:51], v[18:19] op_sel:[0,0,1] op_sel_hi:[0,1,0] neg_lo:[1,0,0] neg_hi:[1,0,0]
	v_pk_fma_f32 v[18:19], v[10:11], v[48:49], v[16:17] op_sel:[0,0,1] op_sel_hi:[0,1,0]
	v_pk_fma_f32 v[48:49], v[10:11], v[48:49], v[16:17] op_sel:[0,0,1] op_sel_hi:[0,1,0] neg_lo:[1,0,0] neg_hi:[1,0,0]
	v_mov_b32_e32 v19, v49
	v_mov_b32_e32 v45, v13
	v_pk_add_f32 v[10:11], v[46:47], v[62:63]
	v_mov_b32_e32 v12, v18
	v_pk_add_f32 v[2:3], v[18:19], v[46:47]
	v_pk_add_f32 v[16:17], v[44:45], v[20:21]
	v_pk_add_f32 v[18:19], v[44:45], v[20:21] neg_lo:[0,1] neg_hi:[0,1]
	v_fmac_f32_e32 v49, -0.5, v11
	s_waitcnt vmcnt(1)
	v_pk_mul_f32 v[50:51], v[40:41], v[4:5] op_sel:[0,1]
	v_pk_add_f32 v[0:1], v[8:9], v[44:45]
	v_fmac_f32_e32 v12, -0.5, v10
	v_pk_fma_f32 v[8:9], v[16:17], 0.5, v[8:9] op_sel_hi:[1,0,1] neg_lo:[1,0,0] neg_hi:[1,0,0]
	v_pk_mul_f32 v[16:17], v[18:19], s[12:13] op_sel_hi:[1,0]
	v_fmamk_f32 v18, v14, 0x3f5db3d7, v49
	v_pk_fma_f32 v[52:53], v[40:41], v[4:5], v[50:51] op_sel:[0,0,1] op_sel_hi:[1,1,0]
	v_fmamk_f32 v13, v15, 0xbf5db3d7, v12
	v_mul_f32_e32 v5, 0xbf5db3d7, v18
	v_fmac_f32_e32 v5, 0.5, v13
	v_pk_fma_f32 v[40:41], v[40:41], v[4:5], v[50:51] op_sel:[0,0,1] op_sel_hi:[1,0,0] neg_lo:[1,0,0] neg_hi:[1,0,0]
	v_fmac_f32_e32 v12, 0x3f5db3d7, v15
	v_mov_b32_e32 v53, v41
	v_pk_mul_f32 v[40:41], v[42:43], v[6:7] op_sel:[0,1]
	v_fmac_f32_e32 v49, 0xbf5db3d7, v14
	v_pk_fma_f32 v[44:45], v[42:43], v[6:7], v[40:41] op_sel:[0,0,1] op_sel_hi:[1,1,0]
	v_pk_fma_f32 v[6:7], v[42:43], v[6:7], v[40:41] op_sel:[0,0,1] op_sel_hi:[1,0,0] neg_lo:[1,0,0] neg_hi:[1,0,0]
	v_pk_add_f32 v[14:15], v[16:17], v[8:9] op_sel:[1,0] op_sel_hi:[0,1]
	v_mov_b32_e32 v45, v7
	s_waitcnt vmcnt(0)
	v_pk_mul_f32 v[6:7], v[54:55], v[32:33] op_sel:[0,1]
	v_mov_b32_e32 v4, v56
	v_pk_fma_f32 v[40:41], v[54:55], v[32:33], v[6:7] op_sel:[0,0,1] op_sel_hi:[1,1,0]
	v_pk_fma_f32 v[6:7], v[54:55], v[32:33], v[6:7] op_sel:[0,0,1] op_sel_hi:[1,0,0] neg_lo:[1,0,0] neg_hi:[1,0,0]
	v_pk_add_f32 v[46:47], v[56:57], v[52:53]
	v_mov_b32_e32 v41, v7
	v_pk_add_f32 v[32:33], v[52:53], v[40:41]
	v_pk_add_f32 v[6:7], v[30:31], v[60:61]
	v_pk_add_f32 v[42:43], v[52:53], v[40:41] neg_lo:[0,1] neg_hi:[0,1]
	v_fmac_f32_e32 v59, -0.5, v33
	v_pk_add_f32 v[10:11], v[8:9], v[16:17] op_sel:[0,1] op_sel_hi:[1,0] neg_lo:[0,1] neg_hi:[0,1]
	v_mov_b32_e32 v8, v14
	v_mov_b32_e32 v14, v49
	v_pk_add_f32 v[6:7], v[6:7], v[44:45]
	v_fmac_f32_e32 v4, -0.5, v32
	v_pk_add_f32 v[40:41], v[46:47], v[40:41]
	v_fmamk_f32 v32, v42, 0x3f5db3d7, v59
	v_pk_add_f32 v[46:47], v[60:61], v[44:45]
	v_pk_add_f32 v[44:45], v[60:61], v[44:45] neg_lo:[0,1] neg_hi:[0,1]
	v_mul_f32_e32 v22, 0.5, v18
	v_pk_mul_f32 v[18:19], v[14:15], s[12:13] op_sel_hi:[0,1]
	v_fmamk_f32 v14, v43, 0xbf5db3d7, v4
	v_pk_fma_f32 v[30:31], v[46:47], 0.5, v[30:31] op_sel_hi:[1,0,1] neg_lo:[1,0,0] neg_hi:[1,0,0]
	v_pk_mul_f32 v[44:45], v[44:45], s[12:13] op_sel_hi:[1,0]
	v_pk_mul_f32 v[32:33], v[32:33], s[12:13] op_sel_hi:[0,1]
	v_pk_add_f32 v[46:47], v[30:31], v[44:45] op_sel:[0,1] op_sel_hi:[1,0] neg_lo:[0,1] neg_hi:[0,1]
	v_pk_add_f32 v[30:31], v[30:31], v[44:45] op_sel:[0,1] op_sel_hi:[1,0]
	v_pk_fma_f32 v[48:49], v[14:15], s[2:3], v[32:33] neg_lo:[0,0,1] neg_hi:[0,0,1]
	v_pk_fma_f32 v[32:33], v[14:15], s[2:3], v[32:33] op_sel_hi:[0,1,1]
	v_fmac_f32_e32 v59, 0xbf5db3d7, v42
	v_mov_b32_e32 v44, v46
	v_mov_b32_e32 v45, v31
	;; [unrolled: 1-line block ×3, first 2 shown]
	v_fmac_f32_e32 v4, 0x3f5db3d7, v43
	v_pk_add_f32 v[42:43], v[6:7], v[40:41]
	v_pk_add_f32 v[32:33], v[44:45], v[48:49]
	v_mov_b32_e32 v14, v59
	ds_write2_b64 v58, v[42:43], v[32:33] offset1:60
	v_pk_mul_f32 v[32:33], v[14:15], s[12:13] op_sel_hi:[0,1]
	v_pk_fma_f32 v[32:33], v[4:5], s[4:5], v[32:33] op_sel_hi:[0,1,1] neg_lo:[0,0,1] neg_hi:[0,0,1]
	v_mov_b32_e32 v31, v47
	v_pk_add_f32 v[0:1], v[0:1], v[20:21]
	v_pk_add_f32 v[2:3], v[2:3], v[62:63]
	v_mov_b32_e32 v9, v11
	v_fmac_f32_e32 v22, 0x3f5db3d7, v13
	v_pk_fma_f32 v[12:13], v[12:13], s[4:5], v[18:19] op_sel_hi:[0,1,1] neg_lo:[0,0,1] neg_hi:[0,0,1]
	v_pk_add_f32 v[42:43], v[30:31], v[32:33]
	v_pk_add_f32 v[6:7], v[6:7], v[40:41] neg_lo:[0,1] neg_hi:[0,1]
	v_pk_add_f32 v[16:17], v[0:1], v[2:3] neg_lo:[0,1] neg_hi:[0,1]
	v_sub_f32_e32 v18, v10, v5
	v_sub_f32_e32 v19, v15, v22
	v_pk_add_f32 v[20:21], v[8:9], v[12:13] neg_lo:[0,1] neg_hi:[0,1]
	ds_write2_b64 v58, v[42:43], v[6:7] offset0:120 offset1:180
	v_pk_add_f32 v[6:7], v[44:45], v[48:49] neg_lo:[0,1] neg_hi:[0,1]
	v_pk_add_f32 v[30:31], v[30:31], v[32:33] neg_lo:[0,1] neg_hi:[0,1]
	v_add_u32_e32 v4, 0x400, v58
	ds_write2_b64 v4, v[6:7], v[30:31] offset0:112 offset1:172
	s_and_saveexec_b64 s[2:3], vcc
	s_cbranch_execz .LBB0_25
; %bb.24:
	v_add_f32_e32 v6, v10, v5
	v_mov_b32_e32 v5, 3
	v_mad_u32_u24 v4, v23, s14, 0
	v_lshlrev_b32_sdwa v5, v5, v39 dst_sel:DWORD dst_unused:UNUSED_PAD src0_sel:DWORD src1_sel:BYTE_0
	v_add_f32_e32 v7, v15, v22
	v_add3_u32 v4, v4, v5, v35
	v_pk_add_f32 v[0:1], v[0:1], v[2:3]
	ds_write2_b64 v4, v[0:1], v[6:7] offset1:60
	v_pk_add_f32 v[0:1], v[8:9], v[12:13]
	ds_write2_b64 v4, v[0:1], v[16:17] offset0:120 offset1:180
	v_add_u32_e32 v0, 0x400, v4
	ds_write2_b64 v0, v[18:19], v[20:21] offset0:112 offset1:172
.LBB0_25:
	s_or_b64 exec, exec, s[2:3]
	v_add_u32_e32 v0, 0x800, v29
	s_waitcnt lgkmcnt(0)
	s_barrier
	ds_read2_b64 v[4:7], v0 offset0:104 offset1:212
	v_add_u32_e32 v0, 0x1000, v29
	v_add_u32_e32 v12, 0x1800, v29
	ds_read_b64 v[30:31], v36
	ds_read2_b64 v[8:11], v0 offset0:64 offset1:208
	ds_read2_b64 v[0:3], v29 offset0:108 offset1:216
	;; [unrolled: 1-line block ×3, first 2 shown]
	v_mul_i32_i24_e32 v32, 0xffffffd8, v28
	v_cmp_gt_u32_e32 vcc, 36, v28
	s_and_saveexec_b64 s[2:3], vcc
	s_cbranch_execz .LBB0_27
; %bb.26:
	ds_read_b64 v[16:17], v29 offset:2592
	ds_read_b64 v[18:19], v29 offset:5472
	;; [unrolled: 1-line block ×3, first 2 shown]
.LBB0_27:
	s_or_b64 exec, exec, s[2:3]
	v_mov_b32_e32 v23, 0
	v_lshlrev_b32_e32 v22, 1, v28
	v_lshlrev_b32_e32 v38, 1, v38
	v_mov_b32_e32 v39, v23
	v_lshl_add_u64 v[40:41], v[22:23], 3, s[8:9]
	v_add_u32_e32 v22, 0x1b0, v22
	v_lshl_add_u64 v[38:39], v[38:39], 3, s[8:9]
	global_load_dwordx4 v[40:43], v[40:41], off offset:2832
	s_mov_b32 s2, 0x3f5db3d7
	global_load_dwordx4 v[44:47], v[38:39], off offset:2832
	v_lshl_add_u64 v[38:39], v[22:23], 3, s[8:9]
	global_load_dwordx4 v[48:51], v[38:39], off offset:2832
	v_add3_u32 v22, v37, v32, v35
	s_waitcnt lgkmcnt(0)
	s_barrier
	s_waitcnt vmcnt(2)
	v_pk_mul_f32 v[32:33], v[40:41], v[4:5] op_sel:[0,1]
	v_pk_mul_f32 v[36:37], v[42:43], v[10:11] op_sel:[0,1]
	v_pk_fma_f32 v[38:39], v[40:41], v[4:5], v[32:33] op_sel:[0,0,1] op_sel_hi:[1,1,0]
	v_pk_fma_f32 v[4:5], v[40:41], v[4:5], v[32:33] op_sel:[0,0,1] op_sel_hi:[1,0,0] neg_lo:[1,0,0] neg_hi:[1,0,0]
	v_pk_fma_f32 v[32:33], v[42:43], v[10:11], v[36:37] op_sel:[0,0,1] op_sel_hi:[1,1,0]
	v_pk_fma_f32 v[10:11], v[42:43], v[10:11], v[36:37] op_sel:[0,0,1] op_sel_hi:[1,0,0] neg_lo:[1,0,0] neg_hi:[1,0,0]
	s_waitcnt vmcnt(1)
	v_pk_mul_f32 v[36:37], v[44:45], v[6:7] op_sel:[0,1]
	v_pk_mul_f32 v[40:41], v[46:47], v[12:13] op_sel:[0,1]
	s_waitcnt vmcnt(0)
	v_pk_mul_f32 v[42:43], v[48:49], v[8:9] op_sel:[0,1]
	v_pk_mul_f32 v[52:53], v[50:51], v[14:15] op_sel:[0,1]
	v_mov_b32_e32 v39, v5
	v_mov_b32_e32 v33, v11
	v_pk_fma_f32 v[4:5], v[44:45], v[6:7], v[36:37] op_sel:[0,0,1] op_sel_hi:[1,1,0]
	v_pk_fma_f32 v[6:7], v[44:45], v[6:7], v[36:37] op_sel:[0,0,1] op_sel_hi:[1,0,0] neg_lo:[1,0,0] neg_hi:[1,0,0]
	v_pk_fma_f32 v[10:11], v[46:47], v[12:13], v[40:41] op_sel:[0,0,1] op_sel_hi:[1,1,0]
	v_pk_fma_f32 v[12:13], v[46:47], v[12:13], v[40:41] op_sel:[0,0,1] op_sel_hi:[1,0,0] neg_lo:[1,0,0] neg_hi:[1,0,0]
	;; [unrolled: 2-line block ×4, first 2 shown]
	v_pk_add_f32 v[42:43], v[30:31], v[38:39]
	v_mov_b32_e32 v5, v7
	v_mov_b32_e32 v11, v13
	;; [unrolled: 1-line block ×3, first 2 shown]
	v_pk_add_f32 v[6:7], v[38:39], v[32:33]
	v_pk_add_f32 v[8:9], v[38:39], v[32:33] neg_lo:[0,1] neg_hi:[0,1]
	v_mov_b32_e32 v41, v15
	v_pk_add_f32 v[12:13], v[42:43], v[32:33]
	v_pk_add_f32 v[14:15], v[0:1], v[4:5]
	;; [unrolled: 1-line block ×3, first 2 shown]
	v_pk_fma_f32 v[6:7], v[6:7], 0.5, v[30:31] op_sel_hi:[1,0,1] neg_lo:[1,0,0] neg_hi:[1,0,0]
	v_pk_mul_f32 v[8:9], v[8:9], s[2:3] op_sel_hi:[1,0]
	v_pk_add_f32 v[30:31], v[4:5], v[10:11]
	v_pk_add_f32 v[4:5], v[4:5], v[10:11] neg_lo:[0,1] neg_hi:[0,1]
	v_pk_add_f32 v[38:39], v[36:37], v[40:41]
	v_pk_add_f32 v[36:37], v[36:37], v[40:41] neg_lo:[0,1] neg_hi:[0,1]
	v_pk_add_f32 v[10:11], v[14:15], v[10:11]
	v_pk_add_f32 v[14:15], v[32:33], v[40:41]
	v_pk_add_f32 v[32:33], v[6:7], v[8:9] op_sel:[0,1] op_sel_hi:[1,0] neg_lo:[0,1] neg_hi:[0,1]
	v_pk_add_f32 v[6:7], v[6:7], v[8:9] op_sel:[0,1] op_sel_hi:[1,0]
	v_pk_fma_f32 v[0:1], v[30:31], 0.5, v[0:1] op_sel_hi:[1,0,1] neg_lo:[1,0,0] neg_hi:[1,0,0]
	v_pk_mul_f32 v[4:5], v[4:5], s[2:3] op_sel_hi:[1,0]
	v_pk_fma_f32 v[2:3], v[38:39], 0.5, v[2:3] op_sel_hi:[1,0,1] neg_lo:[1,0,0] neg_hi:[1,0,0]
	v_pk_mul_f32 v[8:9], v[36:37], s[2:3] op_sel_hi:[1,0]
	v_mov_b32_e32 v30, v32
	v_mov_b32_e32 v31, v7
	;; [unrolled: 1-line block ×3, first 2 shown]
	ds_write2_b64 v29, v[12:13], v[10:11] offset1:108
	v_pk_add_f32 v[10:11], v[0:1], v[4:5] op_sel:[0,1] op_sel_hi:[1,0] neg_lo:[0,1] neg_hi:[0,1]
	v_pk_add_f32 v[0:1], v[0:1], v[4:5] op_sel:[0,1] op_sel_hi:[1,0]
	v_pk_add_f32 v[4:5], v[2:3], v[8:9] op_sel:[0,1] op_sel_hi:[1,0] neg_lo:[0,1] neg_hi:[0,1]
	v_pk_add_f32 v[2:3], v[2:3], v[8:9] op_sel:[0,1] op_sel_hi:[1,0]
	ds_write_b64 v29, v[30:31] offset:2880
	ds_write_b64 v29, v[6:7] offset:5760
	v_mov_b32_e32 v6, v10
	v_mov_b32_e32 v7, v1
	;; [unrolled: 1-line block ×6, first 2 shown]
	ds_write_b64 v22, v[6:7] offset:3744
	ds_write_b64 v22, v[0:1] offset:6624
	;; [unrolled: 1-line block ×5, first 2 shown]
	s_and_saveexec_b64 s[4:5], vcc
	s_cbranch_execz .LBB0_29
; %bb.28:
	v_not_b32_e32 v0, 35
	v_mov_b32_e32 v1, 0x144
	v_cndmask_b32_e32 v0, v0, v1, vcc
	v_add_lshl_u32 v22, v28, v0, 1
	v_lshl_add_u64 v[0:1], v[22:23], 3, s[8:9]
	global_load_dwordx4 v[0:3], v[0:1], off offset:2832
	v_mov_b32_e32 v4, v19
	s_waitcnt vmcnt(0)
	v_pk_mul_f32 v[4:5], v[4:5], v[0:1] op_sel_hi:[0,1]
	v_pk_mul_f32 v[6:7], v[20:21], v[2:3] op_sel:[1,0]
	v_pk_fma_f32 v[8:9], v[18:19], v[0:1], v[4:5] op_sel:[0,0,1] op_sel_hi:[1,1,0]
	v_pk_fma_f32 v[0:1], v[18:19], v[0:1], v[4:5] op_sel:[0,0,1] op_sel_hi:[0,1,0] neg_lo:[1,0,0] neg_hi:[1,0,0]
	v_pk_fma_f32 v[4:5], v[20:21], v[2:3], v[6:7] op_sel:[0,0,1] op_sel_hi:[1,1,0]
	v_pk_fma_f32 v[2:3], v[20:21], v[2:3], v[6:7] op_sel:[0,0,1] op_sel_hi:[0,1,0] neg_lo:[1,0,0] neg_hi:[1,0,0]
	v_mov_b32_e32 v9, v1
	v_mov_b32_e32 v5, v3
	v_pk_add_f32 v[0:1], v[16:17], v[8:9]
	v_pk_add_f32 v[2:3], v[8:9], v[4:5]
	v_pk_add_f32 v[6:7], v[8:9], v[4:5] neg_lo:[0,1] neg_hi:[0,1]
	v_pk_add_f32 v[0:1], v[0:1], v[4:5]
	v_pk_fma_f32 v[2:3], -0.5, v[2:3], v[16:17] op_sel_hi:[0,1,1]
	v_pk_mul_f32 v[4:5], v[6:7], s[2:3] op_sel_hi:[1,0]
	ds_write_b64 v29, v[0:1] offset:2592
	v_pk_add_f32 v[0:1], v[2:3], v[4:5] op_sel:[0,1] op_sel_hi:[1,0] neg_lo:[0,1] neg_hi:[0,1]
	v_pk_add_f32 v[2:3], v[2:3], v[4:5] op_sel:[0,1] op_sel_hi:[1,0]
	v_mov_b32_e32 v4, v0
	v_mov_b32_e32 v5, v3
	;; [unrolled: 1-line block ×3, first 2 shown]
	ds_write_b64 v29, v[4:5] offset:5472
	ds_write_b64 v29, v[2:3] offset:8352
.LBB0_29:
	s_or_b64 exec, exec, s[4:5]
	s_waitcnt lgkmcnt(0)
	s_barrier
	s_and_saveexec_b64 s[2:3], s[0:1]
	s_cbranch_execz .LBB0_31
; %bb.30:
	v_mul_lo_u32 v0, s11, v26
	v_mul_lo_u32 v1, s10, v27
	v_mad_u64_u32 v[4:5], s[0:1], s10, v26, 0
	v_lshl_add_u32 v10, v28, 3, v34
	v_add3_u32 v5, v5, v1, v0
	ds_read2_b64 v[0:3], v10 offset1:108
	v_lshl_add_u64 v[4:5], v[4:5], 3, s[6:7]
	v_mov_b32_e32 v29, 0
	v_lshl_add_u64 v[8:9], v[24:25], 3, v[4:5]
	v_lshl_add_u64 v[4:5], v[28:29], 3, v[8:9]
	s_waitcnt lgkmcnt(0)
	global_store_dwordx2 v[4:5], v[0:1], off
	v_add_u32_e32 v4, 0x400, v10
	ds_read2_b64 v[4:7], v4 offset0:88 offset1:196
	v_add_u32_e32 v0, 0x6c, v28
	v_mov_b32_e32 v1, v29
	v_lshl_add_u64 v[0:1], v[0:1], 3, v[8:9]
	global_store_dwordx2 v[0:1], v[2:3], off
	v_add_u32_e32 v0, 0xd8, v28
	v_mov_b32_e32 v1, v29
	v_lshl_add_u64 v[0:1], v[0:1], 3, v[8:9]
	s_waitcnt lgkmcnt(0)
	global_store_dwordx2 v[0:1], v[4:5], off
	v_add_u32_e32 v0, 0x144, v28
	v_mov_b32_e32 v1, v29
	v_lshl_add_u64 v[4:5], v[0:1], 3, v[8:9]
	v_add_u32_e32 v0, 0xc00, v10
	ds_read2_b64 v[0:3], v0 offset0:48 offset1:156
	global_store_dwordx2 v[4:5], v[6:7], off
	v_add_u32_e32 v4, 0x1b0, v28
	v_mov_b32_e32 v5, v29
	v_lshl_add_u64 v[4:5], v[4:5], 3, v[8:9]
	s_waitcnt lgkmcnt(0)
	global_store_dwordx2 v[4:5], v[0:1], off
	v_add_u32_e32 v4, 0x1000, v10
	ds_read2_b64 v[4:7], v4 offset0:136 offset1:244
	v_add_u32_e32 v0, 0x21c, v28
	v_mov_b32_e32 v1, v29
	v_lshl_add_u64 v[0:1], v[0:1], 3, v[8:9]
	global_store_dwordx2 v[0:1], v[2:3], off
	v_add_u32_e32 v0, 0x288, v28
	v_mov_b32_e32 v1, v29
	v_lshl_add_u64 v[0:1], v[0:1], 3, v[8:9]
	s_waitcnt lgkmcnt(0)
	global_store_dwordx2 v[0:1], v[4:5], off
	v_add_u32_e32 v0, 0x2f4, v28
	v_mov_b32_e32 v1, v29
	v_lshl_add_u64 v[4:5], v[0:1], 3, v[8:9]
	v_add_u32_e32 v0, 0x1800, v10
	ds_read2_b64 v[0:3], v0 offset0:96 offset1:204
	global_store_dwordx2 v[4:5], v[6:7], off
	v_add_u32_e32 v4, 0x360, v28
	v_mov_b32_e32 v5, v29
	v_lshl_add_u64 v[4:5], v[4:5], 3, v[8:9]
	v_add_u32_e32 v28, 0x3cc, v28
	s_waitcnt lgkmcnt(0)
	global_store_dwordx2 v[4:5], v[0:1], off
	v_lshl_add_u64 v[0:1], v[28:29], 3, v[8:9]
	global_store_dwordx2 v[0:1], v[2:3], off
.LBB0_31:
	s_endpgm
	.section	.rodata,"a",@progbits
	.p2align	6, 0x0
	.amdhsa_kernel fft_rtc_back_len1080_factors_6_10_6_3_wgs_216_tpt_108_halfLds_sp_op_CI_CI_unitstride_sbrr_C2R_dirReg
		.amdhsa_group_segment_fixed_size 0
		.amdhsa_private_segment_fixed_size 0
		.amdhsa_kernarg_size 104
		.amdhsa_user_sgpr_count 2
		.amdhsa_user_sgpr_dispatch_ptr 0
		.amdhsa_user_sgpr_queue_ptr 0
		.amdhsa_user_sgpr_kernarg_segment_ptr 1
		.amdhsa_user_sgpr_dispatch_id 0
		.amdhsa_user_sgpr_kernarg_preload_length 0
		.amdhsa_user_sgpr_kernarg_preload_offset 0
		.amdhsa_user_sgpr_private_segment_size 0
		.amdhsa_uses_dynamic_stack 0
		.amdhsa_enable_private_segment 0
		.amdhsa_system_sgpr_workgroup_id_x 1
		.amdhsa_system_sgpr_workgroup_id_y 0
		.amdhsa_system_sgpr_workgroup_id_z 0
		.amdhsa_system_sgpr_workgroup_info 0
		.amdhsa_system_vgpr_workitem_id 0
		.amdhsa_next_free_vgpr 66
		.amdhsa_next_free_sgpr 28
		.amdhsa_accum_offset 68
		.amdhsa_reserve_vcc 1
		.amdhsa_float_round_mode_32 0
		.amdhsa_float_round_mode_16_64 0
		.amdhsa_float_denorm_mode_32 3
		.amdhsa_float_denorm_mode_16_64 3
		.amdhsa_dx10_clamp 1
		.amdhsa_ieee_mode 1
		.amdhsa_fp16_overflow 0
		.amdhsa_tg_split 0
		.amdhsa_exception_fp_ieee_invalid_op 0
		.amdhsa_exception_fp_denorm_src 0
		.amdhsa_exception_fp_ieee_div_zero 0
		.amdhsa_exception_fp_ieee_overflow 0
		.amdhsa_exception_fp_ieee_underflow 0
		.amdhsa_exception_fp_ieee_inexact 0
		.amdhsa_exception_int_div_zero 0
	.end_amdhsa_kernel
	.text
.Lfunc_end0:
	.size	fft_rtc_back_len1080_factors_6_10_6_3_wgs_216_tpt_108_halfLds_sp_op_CI_CI_unitstride_sbrr_C2R_dirReg, .Lfunc_end0-fft_rtc_back_len1080_factors_6_10_6_3_wgs_216_tpt_108_halfLds_sp_op_CI_CI_unitstride_sbrr_C2R_dirReg
                                        ; -- End function
	.section	.AMDGPU.csdata,"",@progbits
; Kernel info:
; codeLenInByte = 7408
; NumSgprs: 34
; NumVgprs: 66
; NumAgprs: 0
; TotalNumVgprs: 66
; ScratchSize: 0
; MemoryBound: 0
; FloatMode: 240
; IeeeMode: 1
; LDSByteSize: 0 bytes/workgroup (compile time only)
; SGPRBlocks: 4
; VGPRBlocks: 8
; NumSGPRsForWavesPerEU: 34
; NumVGPRsForWavesPerEU: 66
; AccumOffset: 68
; Occupancy: 7
; WaveLimiterHint : 1
; COMPUTE_PGM_RSRC2:SCRATCH_EN: 0
; COMPUTE_PGM_RSRC2:USER_SGPR: 2
; COMPUTE_PGM_RSRC2:TRAP_HANDLER: 0
; COMPUTE_PGM_RSRC2:TGID_X_EN: 1
; COMPUTE_PGM_RSRC2:TGID_Y_EN: 0
; COMPUTE_PGM_RSRC2:TGID_Z_EN: 0
; COMPUTE_PGM_RSRC2:TIDIG_COMP_CNT: 0
; COMPUTE_PGM_RSRC3_GFX90A:ACCUM_OFFSET: 16
; COMPUTE_PGM_RSRC3_GFX90A:TG_SPLIT: 0
	.text
	.p2alignl 6, 3212836864
	.fill 256, 4, 3212836864
	.type	__hip_cuid_5aa1e4058bd254b0,@object ; @__hip_cuid_5aa1e4058bd254b0
	.section	.bss,"aw",@nobits
	.globl	__hip_cuid_5aa1e4058bd254b0
__hip_cuid_5aa1e4058bd254b0:
	.byte	0                               ; 0x0
	.size	__hip_cuid_5aa1e4058bd254b0, 1

	.ident	"AMD clang version 19.0.0git (https://github.com/RadeonOpenCompute/llvm-project roc-6.4.0 25133 c7fe45cf4b819c5991fe208aaa96edf142730f1d)"
	.section	".note.GNU-stack","",@progbits
	.addrsig
	.addrsig_sym __hip_cuid_5aa1e4058bd254b0
	.amdgpu_metadata
---
amdhsa.kernels:
  - .agpr_count:     0
    .args:
      - .actual_access:  read_only
        .address_space:  global
        .offset:         0
        .size:           8
        .value_kind:     global_buffer
      - .offset:         8
        .size:           8
        .value_kind:     by_value
      - .actual_access:  read_only
        .address_space:  global
        .offset:         16
        .size:           8
        .value_kind:     global_buffer
      - .actual_access:  read_only
        .address_space:  global
        .offset:         24
        .size:           8
        .value_kind:     global_buffer
      - .actual_access:  read_only
        .address_space:  global
        .offset:         32
        .size:           8
        .value_kind:     global_buffer
      - .offset:         40
        .size:           8
        .value_kind:     by_value
      - .actual_access:  read_only
        .address_space:  global
        .offset:         48
        .size:           8
        .value_kind:     global_buffer
      - .actual_access:  read_only
        .address_space:  global
        .offset:         56
        .size:           8
        .value_kind:     global_buffer
      - .offset:         64
        .size:           4
        .value_kind:     by_value
      - .actual_access:  read_only
        .address_space:  global
        .offset:         72
        .size:           8
        .value_kind:     global_buffer
      - .actual_access:  read_only
        .address_space:  global
        .offset:         80
        .size:           8
        .value_kind:     global_buffer
      - .actual_access:  read_only
        .address_space:  global
        .offset:         88
        .size:           8
        .value_kind:     global_buffer
      - .actual_access:  write_only
        .address_space:  global
        .offset:         96
        .size:           8
        .value_kind:     global_buffer
    .group_segment_fixed_size: 0
    .kernarg_segment_align: 8
    .kernarg_segment_size: 104
    .language:       OpenCL C
    .language_version:
      - 2
      - 0
    .max_flat_workgroup_size: 216
    .name:           fft_rtc_back_len1080_factors_6_10_6_3_wgs_216_tpt_108_halfLds_sp_op_CI_CI_unitstride_sbrr_C2R_dirReg
    .private_segment_fixed_size: 0
    .sgpr_count:     34
    .sgpr_spill_count: 0
    .symbol:         fft_rtc_back_len1080_factors_6_10_6_3_wgs_216_tpt_108_halfLds_sp_op_CI_CI_unitstride_sbrr_C2R_dirReg.kd
    .uniform_work_group_size: 1
    .uses_dynamic_stack: false
    .vgpr_count:     66
    .vgpr_spill_count: 0
    .wavefront_size: 64
amdhsa.target:   amdgcn-amd-amdhsa--gfx950
amdhsa.version:
  - 1
  - 2
...

	.end_amdgpu_metadata
